;; amdgpu-corpus repo=ROCm/rocFFT kind=compiled arch=gfx906 opt=O3
	.text
	.amdgcn_target "amdgcn-amd-amdhsa--gfx906"
	.amdhsa_code_object_version 6
	.protected	fft_rtc_back_len272_factors_16_17_wgs_119_tpt_17_halfLds_sp_ip_CI_unitstride_sbrr_dirReg ; -- Begin function fft_rtc_back_len272_factors_16_17_wgs_119_tpt_17_halfLds_sp_ip_CI_unitstride_sbrr_dirReg
	.globl	fft_rtc_back_len272_factors_16_17_wgs_119_tpt_17_halfLds_sp_ip_CI_unitstride_sbrr_dirReg
	.p2align	8
	.type	fft_rtc_back_len272_factors_16_17_wgs_119_tpt_17_halfLds_sp_ip_CI_unitstride_sbrr_dirReg,@function
fft_rtc_back_len272_factors_16_17_wgs_119_tpt_17_halfLds_sp_ip_CI_unitstride_sbrr_dirReg: ; @fft_rtc_back_len272_factors_16_17_wgs_119_tpt_17_halfLds_sp_ip_CI_unitstride_sbrr_dirReg
; %bb.0:
	s_load_dwordx2 s[2:3], s[4:5], 0x50
	s_load_dwordx4 s[8:11], s[4:5], 0x0
	s_load_dwordx2 s[12:13], s[4:5], 0x18
	v_mul_u32_u24_e32 v1, 0xf10, v0
	v_lshrrev_b32_e32 v1, 16, v1
	v_mad_u64_u32 v[1:2], s[0:1], s6, 7, v[1:2]
	v_mov_b32_e32 v5, 0
	s_waitcnt lgkmcnt(0)
	v_cmp_lt_u64_e64 s[0:1], s[10:11], 2
	v_mov_b32_e32 v2, v5
	v_mov_b32_e32 v3, 0
	;; [unrolled: 1-line block ×3, first 2 shown]
	s_and_b64 vcc, exec, s[0:1]
	v_mov_b32_e32 v4, 0
	v_mov_b32_e32 v9, v1
	s_cbranch_vccnz .LBB0_8
; %bb.1:
	s_load_dwordx2 s[0:1], s[4:5], 0x10
	s_add_u32 s6, s12, 8
	s_addc_u32 s7, s13, 0
	v_mov_b32_e32 v3, 0
	v_mov_b32_e32 v8, v2
	s_waitcnt lgkmcnt(0)
	s_add_u32 s16, s0, 8
	s_mov_b64 s[14:15], 1
	v_mov_b32_e32 v4, 0
	s_addc_u32 s17, s1, 0
	v_mov_b32_e32 v7, v1
.LBB0_2:                                ; =>This Inner Loop Header: Depth=1
	s_load_dwordx2 s[18:19], s[16:17], 0x0
                                        ; implicit-def: $vgpr9_vgpr10
	s_waitcnt lgkmcnt(0)
	v_or_b32_e32 v6, s19, v8
	v_cmp_ne_u64_e32 vcc, 0, v[5:6]
	s_and_saveexec_b64 s[0:1], vcc
	s_xor_b64 s[20:21], exec, s[0:1]
	s_cbranch_execz .LBB0_4
; %bb.3:                                ;   in Loop: Header=BB0_2 Depth=1
	v_cvt_f32_u32_e32 v2, s18
	v_cvt_f32_u32_e32 v6, s19
	s_sub_u32 s0, 0, s18
	s_subb_u32 s1, 0, s19
	v_mac_f32_e32 v2, 0x4f800000, v6
	v_rcp_f32_e32 v2, v2
	v_mul_f32_e32 v2, 0x5f7ffffc, v2
	v_mul_f32_e32 v6, 0x2f800000, v2
	v_trunc_f32_e32 v6, v6
	v_mac_f32_e32 v2, 0xcf800000, v6
	v_cvt_u32_f32_e32 v6, v6
	v_cvt_u32_f32_e32 v2, v2
	v_mul_lo_u32 v9, s0, v6
	v_mul_hi_u32 v10, s0, v2
	v_mul_lo_u32 v12, s1, v2
	v_mul_lo_u32 v11, s0, v2
	v_add_u32_e32 v9, v10, v9
	v_add_u32_e32 v9, v9, v12
	v_mul_hi_u32 v10, v2, v11
	v_mul_lo_u32 v12, v2, v9
	v_mul_hi_u32 v14, v2, v9
	v_mul_hi_u32 v13, v6, v11
	v_mul_lo_u32 v11, v6, v11
	v_mul_hi_u32 v15, v6, v9
	v_add_co_u32_e32 v10, vcc, v10, v12
	v_addc_co_u32_e32 v12, vcc, 0, v14, vcc
	v_mul_lo_u32 v9, v6, v9
	v_add_co_u32_e32 v10, vcc, v10, v11
	v_addc_co_u32_e32 v10, vcc, v12, v13, vcc
	v_addc_co_u32_e32 v11, vcc, 0, v15, vcc
	v_add_co_u32_e32 v9, vcc, v10, v9
	v_addc_co_u32_e32 v10, vcc, 0, v11, vcc
	v_add_co_u32_e32 v2, vcc, v2, v9
	v_addc_co_u32_e32 v6, vcc, v6, v10, vcc
	v_mul_lo_u32 v9, s0, v6
	v_mul_hi_u32 v10, s0, v2
	v_mul_lo_u32 v11, s1, v2
	v_mul_lo_u32 v12, s0, v2
	v_add_u32_e32 v9, v10, v9
	v_add_u32_e32 v9, v9, v11
	v_mul_lo_u32 v13, v2, v9
	v_mul_hi_u32 v14, v2, v12
	v_mul_hi_u32 v15, v2, v9
	;; [unrolled: 1-line block ×3, first 2 shown]
	v_mul_lo_u32 v12, v6, v12
	v_mul_hi_u32 v10, v6, v9
	v_add_co_u32_e32 v13, vcc, v14, v13
	v_addc_co_u32_e32 v14, vcc, 0, v15, vcc
	v_mul_lo_u32 v9, v6, v9
	v_add_co_u32_e32 v12, vcc, v13, v12
	v_addc_co_u32_e32 v11, vcc, v14, v11, vcc
	v_addc_co_u32_e32 v10, vcc, 0, v10, vcc
	v_add_co_u32_e32 v9, vcc, v11, v9
	v_addc_co_u32_e32 v10, vcc, 0, v10, vcc
	v_add_co_u32_e32 v2, vcc, v2, v9
	v_addc_co_u32_e32 v6, vcc, v6, v10, vcc
	v_mad_u64_u32 v[9:10], s[0:1], v7, v6, 0
	v_mul_hi_u32 v11, v7, v2
	v_add_co_u32_e32 v13, vcc, v11, v9
	v_addc_co_u32_e32 v14, vcc, 0, v10, vcc
	v_mad_u64_u32 v[9:10], s[0:1], v8, v2, 0
	v_mad_u64_u32 v[11:12], s[0:1], v8, v6, 0
	v_add_co_u32_e32 v2, vcc, v13, v9
	v_addc_co_u32_e32 v2, vcc, v14, v10, vcc
	v_addc_co_u32_e32 v6, vcc, 0, v12, vcc
	v_add_co_u32_e32 v2, vcc, v2, v11
	v_addc_co_u32_e32 v6, vcc, 0, v6, vcc
	v_mul_lo_u32 v11, s19, v2
	v_mul_lo_u32 v12, s18, v6
	v_mad_u64_u32 v[9:10], s[0:1], s18, v2, 0
	v_add3_u32 v10, v10, v12, v11
	v_sub_u32_e32 v11, v8, v10
	v_mov_b32_e32 v12, s19
	v_sub_co_u32_e32 v9, vcc, v7, v9
	v_subb_co_u32_e64 v11, s[0:1], v11, v12, vcc
	v_subrev_co_u32_e64 v12, s[0:1], s18, v9
	v_subbrev_co_u32_e64 v11, s[0:1], 0, v11, s[0:1]
	v_cmp_le_u32_e64 s[0:1], s19, v11
	v_cndmask_b32_e64 v13, 0, -1, s[0:1]
	v_cmp_le_u32_e64 s[0:1], s18, v12
	v_cndmask_b32_e64 v12, 0, -1, s[0:1]
	v_cmp_eq_u32_e64 s[0:1], s19, v11
	v_cndmask_b32_e64 v11, v13, v12, s[0:1]
	v_add_co_u32_e64 v12, s[0:1], 2, v2
	v_addc_co_u32_e64 v13, s[0:1], 0, v6, s[0:1]
	v_add_co_u32_e64 v14, s[0:1], 1, v2
	v_addc_co_u32_e64 v15, s[0:1], 0, v6, s[0:1]
	v_subb_co_u32_e32 v10, vcc, v8, v10, vcc
	v_cmp_ne_u32_e64 s[0:1], 0, v11
	v_cmp_le_u32_e32 vcc, s19, v10
	v_cndmask_b32_e64 v11, v15, v13, s[0:1]
	v_cndmask_b32_e64 v13, 0, -1, vcc
	v_cmp_le_u32_e32 vcc, s18, v9
	v_cndmask_b32_e64 v9, 0, -1, vcc
	v_cmp_eq_u32_e32 vcc, s19, v10
	v_cndmask_b32_e32 v9, v13, v9, vcc
	v_cmp_ne_u32_e32 vcc, 0, v9
	v_cndmask_b32_e32 v10, v6, v11, vcc
	v_cndmask_b32_e64 v6, v14, v12, s[0:1]
	v_cndmask_b32_e32 v9, v2, v6, vcc
.LBB0_4:                                ;   in Loop: Header=BB0_2 Depth=1
	s_andn2_saveexec_b64 s[0:1], s[20:21]
	s_cbranch_execz .LBB0_6
; %bb.5:                                ;   in Loop: Header=BB0_2 Depth=1
	v_cvt_f32_u32_e32 v2, s18
	s_sub_i32 s20, 0, s18
	v_rcp_iflag_f32_e32 v2, v2
	v_mul_f32_e32 v2, 0x4f7ffffe, v2
	v_cvt_u32_f32_e32 v2, v2
	v_mul_lo_u32 v6, s20, v2
	v_mul_hi_u32 v6, v2, v6
	v_add_u32_e32 v2, v2, v6
	v_mul_hi_u32 v2, v7, v2
	v_mul_lo_u32 v6, v2, s18
	v_add_u32_e32 v9, 1, v2
	v_sub_u32_e32 v6, v7, v6
	v_subrev_u32_e32 v10, s18, v6
	v_cmp_le_u32_e32 vcc, s18, v6
	v_cndmask_b32_e32 v6, v6, v10, vcc
	v_cndmask_b32_e32 v2, v2, v9, vcc
	v_add_u32_e32 v9, 1, v2
	v_cmp_le_u32_e32 vcc, s18, v6
	v_cndmask_b32_e32 v9, v2, v9, vcc
	v_mov_b32_e32 v10, v5
.LBB0_6:                                ;   in Loop: Header=BB0_2 Depth=1
	s_or_b64 exec, exec, s[0:1]
	v_mul_lo_u32 v2, v10, s18
	v_mul_lo_u32 v6, v9, s19
	v_mad_u64_u32 v[11:12], s[0:1], v9, s18, 0
	s_load_dwordx2 s[0:1], s[6:7], 0x0
	s_add_u32 s14, s14, 1
	v_add3_u32 v2, v12, v6, v2
	v_sub_co_u32_e32 v6, vcc, v7, v11
	v_subb_co_u32_e32 v2, vcc, v8, v2, vcc
	s_waitcnt lgkmcnt(0)
	v_mul_lo_u32 v2, s0, v2
	v_mul_lo_u32 v7, s1, v6
	v_mad_u64_u32 v[3:4], s[0:1], s0, v6, v[3:4]
	s_addc_u32 s15, s15, 0
	s_add_u32 s6, s6, 8
	v_add3_u32 v4, v7, v4, v2
	v_mov_b32_e32 v6, s10
	v_mov_b32_e32 v7, s11
	s_addc_u32 s7, s7, 0
	v_cmp_ge_u64_e32 vcc, s[14:15], v[6:7]
	s_add_u32 s16, s16, 8
	s_addc_u32 s17, s17, 0
	s_cbranch_vccnz .LBB0_8
; %bb.7:                                ;   in Loop: Header=BB0_2 Depth=1
	v_mov_b32_e32 v7, v9
	v_mov_b32_e32 v8, v10
	s_branch .LBB0_2
.LBB0_8:
	s_lshl_b64 s[0:1], s[10:11], 3
	s_add_u32 s0, s12, s0
	s_addc_u32 s1, s13, s1
	s_load_dwordx2 s[6:7], s[0:1], 0x0
	s_load_dwordx2 s[10:11], s[4:5], 0x20
                                        ; implicit-def: $vgpr8
                                        ; implicit-def: $vgpr22
                                        ; implicit-def: $vgpr39
                                        ; implicit-def: $vgpr28
                                        ; implicit-def: $vgpr37
                                        ; implicit-def: $vgpr30
	s_waitcnt lgkmcnt(0)
	v_mad_u64_u32 v[5:6], s[0:1], s6, v9, v[3:4]
	s_mov_b32 s0, 0xf0f0f10
	v_mul_lo_u32 v2, s6, v10
	v_mul_lo_u32 v7, s7, v9
	v_mul_hi_u32 v3, v0, s0
	v_cmp_gt_u64_e32 vcc, s[10:11], v[9:10]
                                        ; implicit-def: $vgpr10
	v_add3_u32 v6, v7, v6, v2
	v_mul_u32_u24_e32 v2, 17, v3
	v_mov_b32_e32 v3, 0
	v_mov_b32_e32 v4, 0
	v_lshlrev_b64 v[34:35], 3, v[5:6]
	v_mov_b32_e32 v20, v4
	v_mov_b32_e32 v24, v4
	;; [unrolled: 1-line block ×7, first 2 shown]
	v_sub_u32_e32 v32, v0, v2
	v_mov_b32_e32 v19, v3
	v_mov_b32_e32 v23, v3
	;; [unrolled: 1-line block ×7, first 2 shown]
                                        ; implicit-def: $vgpr6
	s_and_saveexec_b64 s[4:5], vcc
	s_cbranch_execz .LBB0_10
; %bb.9:
	v_mov_b32_e32 v33, 0
	v_mov_b32_e32 v0, s3
	v_add_co_u32_e64 v4, s[0:1], s2, v34
	v_lshlrev_b64 v[2:3], 3, v[32:33]
	v_addc_co_u32_e64 v0, s[0:1], v0, v35, s[0:1]
	v_add_co_u32_e64 v29, s[0:1], v4, v2
	v_addc_co_u32_e64 v30, s[0:1], v0, v3, s[0:1]
	global_load_dwordx2 v[3:4], v[29:30], off
	global_load_dwordx2 v[15:16], v[29:30], off offset:136
	global_load_dwordx2 v[23:24], v[29:30], off offset:272
	;; [unrolled: 1-line block ×14, first 2 shown]
	s_nop 0
	global_load_dwordx2 v[29:30], v[29:30], off offset:2040
.LBB0_10:
	s_or_b64 exec, exec, s[4:5]
	s_mov_b32 s0, 0x24924925
	v_mul_hi_u32 v0, v1, s0
	s_waitcnt vmcnt(5)
	v_sub_f32_e32 v2, v23, v21
	s_waitcnt vmcnt(3)
	v_sub_f32_e32 v31, v19, v38
	v_sub_f32_e32 v22, v24, v22
	v_sub_u32_e32 v21, v1, v0
	v_lshrrev_b32_e32 v21, 1, v21
	v_add_u32_e32 v0, v21, v0
	v_lshrrev_b32_e32 v0, 2, v0
	v_mul_lo_u32 v0, v0, 7
	v_fma_f32 v21, v24, 2.0, -v22
	v_sub_f32_e32 v8, v16, v8
	v_sub_f32_e32 v33, v20, v39
	v_sub_u32_e32 v38, v1, v0
	s_waitcnt vmcnt(1)
	v_sub_f32_e32 v0, v25, v36
	v_sub_f32_e32 v1, v26, v37
	v_fma_f32 v24, v25, 2.0, -v0
	v_sub_f32_e32 v25, v17, v27
	v_fma_f32 v37, v26, 2.0, -v1
	v_sub_f32_e32 v7, v15, v7
	v_sub_f32_e32 v26, v18, v28
	;; [unrolled: 1-line block ×3, first 2 shown]
	s_waitcnt vmcnt(0)
	v_sub_f32_e32 v27, v13, v29
	v_sub_f32_e32 v39, v8, v25
	v_fma_f32 v16, v16, 2.0, -v8
	v_sub_f32_e32 v9, v11, v9
	v_sub_f32_e32 v28, v14, v30
	v_add_f32_e32 v30, v7, v26
	v_fma_f32 v8, v8, 2.0, -v39
	v_sub_f32_e32 v29, v10, v27
	v_fma_f32 v15, v15, 2.0, -v7
	v_fma_f32 v18, v18, 2.0, -v26
	;; [unrolled: 1-line block ×5, first 2 shown]
	v_add_f32_e32 v28, v9, v28
	v_fma_f32 v10, v10, 2.0, -v29
	v_mov_b32_e32 v26, v8
	v_fma_f32 v17, v17, 2.0, -v25
	v_fma_f32 v11, v11, 2.0, -v9
	v_fma_f32 v9, v9, 2.0, -v28
	v_mov_b32_e32 v25, v7
	v_fmac_f32_e32 v26, 0xbf3504f3, v10
	v_sub_f32_e32 v5, v3, v5
	v_fmac_f32_e32 v25, 0xbf3504f3, v9
	v_fmac_f32_e32 v26, 0xbf3504f3, v9
	v_fma_f32 v3, v3, 2.0, -v5
	v_fma_f32 v9, v19, 2.0, -v31
	v_add_f32_e32 v19, v5, v33
	v_fmac_f32_e32 v25, 0x3f3504f3, v10
	v_sub_f32_e32 v10, v3, v9
	v_fma_f32 v9, v5, 2.0, -v19
	v_add_f32_e32 v40, v2, v1
	v_sub_f32_e32 v41, v22, v0
	v_fma_f32 v43, v2, 2.0, -v40
	v_mov_b32_e32 v45, v9
	v_fma_f32 v23, v23, 2.0, -v2
	v_fma_f32 v13, v13, 2.0, -v27
	;; [unrolled: 1-line block ×3, first 2 shown]
	v_fmac_f32_e32 v45, 0xbf3504f3, v43
	v_sub_f32_e32 v5, v23, v24
	v_sub_f32_e32 v2, v15, v17
	;; [unrolled: 1-line block ×3, first 2 shown]
	v_fmac_f32_e32 v45, 0x3f3504f3, v44
	v_fma_f32 v3, v3, 2.0, -v10
	v_fma_f32 v23, v23, 2.0, -v5
	;; [unrolled: 1-line block ×5, first 2 shown]
	v_mov_b32_e32 v27, v30
	v_sub_f32_e32 v15, v3, v23
	v_sub_f32_e32 v24, v0, v1
	v_fma_f32 v7, v7, 2.0, -v25
	v_mov_b32_e32 v9, v11
	v_fmac_f32_e32 v27, 0x3f3504f3, v28
	v_mov_b32_e32 v36, v39
	v_fma_f32 v3, v3, 2.0, -v15
	v_fma_f32 v0, v0, 2.0, -v24
	v_fma_f32 v22, v8, 2.0, -v26
	v_fmac_f32_e32 v9, 0xbf6c835e, v7
	v_fmac_f32_e32 v36, 0x3f3504f3, v29
	;; [unrolled: 1-line block ×3, first 2 shown]
	v_sub_f32_e32 v8, v3, v0
	v_fmac_f32_e32 v9, 0x3ec3ef15, v22
	v_sub_f32_e32 v29, v21, v37
	v_mov_b32_e32 v47, v19
	v_fma_f32 v0, v3, 2.0, -v8
	v_fma_f32 v1, v11, 2.0, -v9
	v_sub_f32_e32 v3, v16, v18
	v_sub_f32_e32 v11, v12, v14
	v_add_f32_e32 v14, v10, v29
	v_fmac_f32_e32 v47, 0x3f3504f3, v40
	v_fma_f32 v23, v16, 2.0, -v3
	v_fma_f32 v16, v10, 2.0, -v14
	v_add_f32_e32 v37, v2, v11
	v_sub_f32_e32 v51, v3, v13
	v_fmac_f32_e32 v47, 0x3f3504f3, v41
	v_fma_f32 v46, v2, 2.0, -v37
	v_fma_f32 v52, v3, 2.0, -v51
	v_mov_b32_e32 v10, v16
	v_fma_f32 v3, v19, 2.0, -v47
	v_fmac_f32_e32 v36, 0xbf3504f3, v28
	v_fma_f32 v12, v12, 2.0, -v11
	v_fmac_f32_e32 v10, 0xbf3504f3, v46
	v_fma_f32 v28, v30, 2.0, -v27
	v_mov_b32_e32 v11, v3
	v_mov_b32_e32 v17, v45
	;; [unrolled: 1-line block ×4, first 2 shown]
	v_fmac_f32_e32 v10, 0x3f3504f3, v52
	v_fma_f32 v30, v39, 2.0, -v36
	v_fmac_f32_e32 v11, 0xbec3ef15, v28
	v_sub_f32_e32 v42, v23, v12
	v_fmac_f32_e32 v17, 0x3ec3ef15, v25
	v_fmac_f32_e32 v18, 0x3f3504f3, v37
	;; [unrolled: 1-line block ×3, first 2 shown]
	v_fma_f32 v2, v16, 2.0, -v10
	v_fmac_f32_e32 v11, 0x3f6c835e, v30
	v_add_f32_e32 v16, v15, v42
	v_fmac_f32_e32 v17, 0x3f6c835e, v26
	v_fmac_f32_e32 v18, 0x3f3504f3, v51
	;; [unrolled: 1-line block ×3, first 2 shown]
	v_mul_u32_u24_e32 v38, 0x110, v38
	v_mul_f32_e32 v49, 0x3f3504f3, v43
	v_mul_f32_e32 v43, 0x3f3504f3, v37
	v_lshl_add_u32 v37, v32, 6, 0
	v_fma_f32 v3, v3, 2.0, -v11
	v_fma_f32 v12, v15, 2.0, -v16
	;; [unrolled: 1-line block ×5, first 2 shown]
	v_mul_f32_e32 v50, 0x3f3504f3, v44
	v_mul_f32_e32 v47, 0x3f3504f3, v40
	v_mul_f32_e32 v48, 0x3f3504f3, v41
	v_mul_f32_e32 v45, 0x3f3504f3, v46
	v_mul_f32_e32 v46, 0x3f3504f3, v52
	v_mul_f32_e32 v44, 0x3f3504f3, v51
	v_lshl_add_u32 v40, v38, 2, v37
	v_cmp_gt_u32_e64 s[0:1], 16, v32
	v_lshlrev_b32_e32 v39, 2, v38
	v_lshlrev_b32_e32 v41, 2, v32
	ds_write2_b64 v40, v[0:1], v[2:3] offset1:1
	ds_write2_b64 v40, v[12:13], v[14:15] offset0:2 offset1:3
	ds_write2_b64 v40, v[8:9], v[10:11] offset0:4 offset1:5
	ds_write2_b64 v40, v[16:17], v[18:19] offset0:6 offset1:7
	s_waitcnt lgkmcnt(0)
	s_barrier
	s_waitcnt lgkmcnt(0)
                                        ; implicit-def: $vgpr38
	s_and_saveexec_b64 s[4:5], s[0:1]
	s_cbranch_execz .LBB0_12
; %bb.11:
	v_mul_i32_i24_e32 v1, 0xffffffc4, v32
	v_add3_u32 v0, 0, v39, v41
	v_add3_u32 v3, v37, v1, v39
	ds_read_b32 v0, v0
	ds_read2_b32 v[1:2], v3 offset0:16 offset1:32
	ds_read2_b32 v[11:12], v3 offset0:48 offset1:64
	;; [unrolled: 1-line block ×7, first 2 shown]
	v_add_u32_e32 v3, 0x200, v3
	ds_read2_b32 v[37:38], v3 offset0:112 offset1:128
	s_waitcnt lgkmcnt(6)
	v_mov_b32_e32 v3, v11
	s_waitcnt lgkmcnt(4)
	v_mov_b32_e32 v8, v16
	;; [unrolled: 2-line block ×3, first 2 shown]
	v_mov_b32_e32 v16, v52
	s_waitcnt lgkmcnt(0)
	v_mov_b32_e32 v19, v37
.LBB0_12:
	s_or_b64 exec, exec, s[4:5]
	v_sub_f32_e32 v6, v4, v6
	v_fma_f32 v4, v4, 2.0, -v6
	v_fma_f32 v20, v20, 2.0, -v33
	v_sub_f32_e32 v20, v4, v20
	v_sub_f32_e32 v31, v6, v31
	v_fma_f32 v4, v4, 2.0, -v20
	v_fma_f32 v6, v6, 2.0, -v31
	;; [unrolled: 1-line block ×3, first 2 shown]
	v_sub_f32_e32 v37, v20, v5
	v_add_f32_e32 v5, v31, v48
	v_sub_f32_e32 v29, v4, v21
	v_sub_f32_e32 v21, v6, v50
	;; [unrolled: 1-line block ×4, first 2 shown]
	v_fma_f32 v31, v31, 2.0, -v47
	v_fma_f32 v6, v6, 2.0, -v33
	;; [unrolled: 1-line block ×3, first 2 shown]
	v_mov_b32_e32 v23, v31
	v_mov_b32_e32 v21, v6
	v_fmac_f32_e32 v23, 0xbec3ef15, v30
	v_fmac_f32_e32 v21, 0xbf6c835e, v22
	v_fmac_f32_e32 v23, 0xbf6c835e, v28
	v_sub_f32_e32 v28, v29, v24
	v_fma_f32 v4, v4, 2.0, -v29
	v_fma_f32 v49, v20, 2.0, -v37
	v_fmac_f32_e32 v21, 0xbec3ef15, v7
	v_fma_f32 v7, v31, 2.0, -v23
	v_fma_f32 v24, v29, 2.0, -v28
	v_mov_b32_e32 v29, v33
	v_mov_b32_e32 v31, v47
	v_sub_f32_e32 v20, v4, v5
	v_fma_f32 v5, v6, 2.0, -v21
	v_sub_f32_e32 v6, v49, v46
	v_fmac_f32_e32 v29, 0x3ec3ef15, v26
	v_add_f32_e32 v26, v37, v44
	v_fmac_f32_e32 v31, 0x3f6c835e, v36
	v_sub_f32_e32 v22, v6, v45
	v_fmac_f32_e32 v29, 0xbf6c835e, v25
	v_sub_f32_e32 v30, v26, v43
	v_fmac_f32_e32 v31, 0xbec3ef15, v27
	v_fma_f32 v4, v4, 2.0, -v20
	v_fma_f32 v6, v49, 2.0, -v22
	;; [unrolled: 1-line block ×5, first 2 shown]
	s_barrier
	ds_write2_b64 v40, v[4:5], v[6:7] offset1:1
	ds_write2_b64 v40, v[24:25], v[26:27] offset0:2 offset1:3
	ds_write2_b64 v40, v[20:21], v[22:23] offset0:4 offset1:5
	;; [unrolled: 1-line block ×3, first 2 shown]
	s_waitcnt lgkmcnt(0)
	s_barrier
	s_waitcnt lgkmcnt(0)
                                        ; implicit-def: $vgpr40
	s_and_saveexec_b64 s[4:5], s[0:1]
	s_cbranch_execnz .LBB0_15
; %bb.13:
	s_or_b64 exec, exec, s[4:5]
	s_and_b64 s[0:1], vcc, s[0:1]
	s_and_saveexec_b64 s[4:5], s[0:1]
	s_cbranch_execnz .LBB0_16
.LBB0_14:
	s_endpgm
.LBB0_15:
	v_add3_u32 v4, 0, v39, v41
	v_add3_u32 v7, 0, v41, v39
	ds_read_b32 v4, v4
	ds_read2_b32 v[5:6], v7 offset0:16 offset1:32
	ds_read2_b32 v[36:37], v7 offset0:48 offset1:64
	ds_read2_b32 v[25:26], v7 offset0:80 offset1:96
	ds_read2_b32 v[23:24], v7 offset0:112 offset1:128
	ds_read2_b32 v[21:22], v7 offset0:144 offset1:160
	ds_read2_b32 v[41:42], v7 offset0:176 offset1:192
	ds_read2_b32 v[29:30], v7 offset0:208 offset1:224
	v_add_u32_e32 v7, 0x200, v7
	ds_read2_b32 v[39:40], v7 offset0:112 offset1:128
	s_waitcnt lgkmcnt(4)
	v_mov_b32_e32 v27, v23
	v_mov_b32_e32 v20, v24
	s_waitcnt lgkmcnt(2)
	v_mov_b32_e32 v23, v41
	v_mov_b32_e32 v28, v42
	;; [unrolled: 3-line block ×3, first 2 shown]
	v_mov_b32_e32 v7, v36
	s_or_b64 exec, exec, s[4:5]
	s_and_b64 s[0:1], vcc, s[0:1]
	s_and_saveexec_b64 s[4:5], s[0:1]
	s_cbranch_execz .LBB0_14
.LBB0_16:
	v_lshlrev_b32_e32 v36, 4, v32
	v_mov_b32_e32 v37, 0
	v_lshlrev_b64 v[41:42], 3, v[36:37]
	v_mov_b32_e32 v33, s9
	v_add_co_u32_e32 v41, vcc, s8, v41
	v_addc_co_u32_e32 v42, vcc, v33, v42, vcc
	global_load_dwordx4 v[54:57], v[41:42], off offset:112
	global_load_dwordx4 v[58:61], v[41:42], off
	global_load_dwordx4 v[62:65], v[41:42], off offset:96
	global_load_dwordx4 v[66:69], v[41:42], off offset:16
	;; [unrolled: 1-line block ×6, first 2 shown]
	s_mov_b32 s5, 0x3ee437d1
	s_mov_b32 s1, 0xbf1a4643
	;; [unrolled: 1-line block ×8, first 2 shown]
	s_waitcnt vmcnt(7)
	v_mul_f32_e32 v33, v40, v57
	s_waitcnt vmcnt(6)
	v_mul_f32_e32 v42, v5, v59
	v_mul_f32_e32 v43, v6, v61
	v_fmac_f32_e32 v33, v38, v56
	v_fmac_f32_e32 v42, v1, v58
	v_mul_f32_e32 v57, v38, v57
	v_mul_f32_e32 v59, v1, v59
	v_mul_f32_e32 v61, v2, v61
	s_waitcnt vmcnt(3)
	v_mul_f32_e32 v45, v23, v71
	v_mul_f32_e32 v71, v11, v71
	s_waitcnt vmcnt(2)
	v_mul_f32_e32 v48, v25, v75
	v_mul_f32_e32 v75, v13, v75
	;; [unrolled: 1-line block ×4, first 2 shown]
	s_waitcnt vmcnt(1)
	v_mul_f32_e32 v51, v27, v79
	v_mul_f32_e32 v79, v15, v79
	s_waitcnt vmcnt(0)
	v_mul_f32_e32 v50, v22, v85
	v_mul_f32_e32 v85, v10, v85
	v_mul_f32_e32 v53, v21, v83
	v_mul_f32_e32 v83, v9, v83
	v_fmac_f32_e32 v43, v2, v60
	v_sub_f32_e32 v2, v42, v33
	v_mul_f32_e32 v36, v31, v55
	v_mul_f32_e32 v55, v19, v55
	;; [unrolled: 1-line block ×11, first 2 shown]
	v_fma_f32 v38, v40, v56, -v57
	v_fma_f32 v1, v5, v58, -v59
	v_fmac_f32_e32 v45, v11, v70
	v_fma_f32 v11, v23, v70, -v71
	v_fmac_f32_e32 v48, v13, v74
	;; [unrolled: 2-line block ×5, first 2 shown]
	v_fmac_f32_e32 v53, v9, v82
	v_fma_f32 v9, v22, v84, -v85
	v_fma_f32 v10, v21, v82, -v83
	v_mul_f32_e32 v21, 0xbf65296c, v2
	v_mul_f32_e32 v22, 0xbf7ee86f, v2
	;; [unrolled: 1-line block ×9, first 2 shown]
	v_fmac_f32_e32 v36, v19, v54
	v_fma_f32 v19, v31, v54, -v55
	v_fma_f32 v31, v6, v60, -v61
	v_fmac_f32_e32 v41, v17, v62
	v_fma_f32 v17, v29, v62, -v63
	v_fmac_f32_e32 v46, v3, v66
	;; [unrolled: 2-line block ×3, first 2 shown]
	v_fmac_f32_e32 v44, v16, v72
	v_fma_f32 v12, v28, v72, -v73
	v_fmac_f32_e32 v52, v8, v80
	v_fma_f32 v16, v20, v80, -v81
	v_add_f32_e32 v7, v1, v38
	v_mov_b32_e32 v3, v21
	v_mov_b32_e32 v5, v22
	;; [unrolled: 1-line block ×6, first 2 shown]
	v_fmac_f32_e32 v39, v18, v64
	v_fma_f32 v18, v30, v64, -v65
	v_fmac_f32_e32 v3, 0x3ee437d1, v7
	v_fmac_f32_e32 v5, 0x3dbcf732, v7
	;; [unrolled: 1-line block ×6, first 2 shown]
	v_fma_f32 v27, v7, s0, -v27
	v_fma_f32 v26, v7, s7, -v26
	;; [unrolled: 1-line block ×6, first 2 shown]
	v_mul_f32_e32 v30, 0x3f3d2fb0, v7
	v_mul_f32_e32 v7, 0x3f6eb680, v7
	v_mov_b32_e32 v40, v30
	v_mov_b32_e32 v54, v7
	v_add_f32_e32 v93, v4, v21
	v_sub_f32_e32 v21, v43, v36
	v_fmac_f32_e32 v40, 0x3f2c7751, v2
	v_fmac_f32_e32 v54, 0x3eb8f4ab, v2
	v_fmac_f32_e32 v30, 0xbf2c7751, v2
	v_fmac_f32_e32 v7, 0xbeb8f4ab, v2
	v_mul_f32_e32 v94, 0xbf4c4adb, v21
	v_add_f32_e32 v2, v4, v3
	v_add_f32_e32 v3, v4, v5
	;; [unrolled: 1-line block ×17, first 2 shown]
	v_mov_b32_e32 v4, v94
	v_sub_f32_e32 v22, v46, v39
	v_fmac_f32_e32 v4, 0xbf1a4643, v63
	v_mul_f32_e32 v95, 0x3e3c28d5, v22
	v_add_f32_e32 v2, v2, v4
	v_add_f32_e32 v64, v29, v18
	v_mov_b32_e32 v4, v95
	v_sub_f32_e32 v23, v47, v41
	v_fma_f32 v24, v24, v68, -v69
	v_fmac_f32_e32 v4, 0xbf7ba420, v64
	v_mul_f32_e32 v96, 0x3f763a35, v23
	v_add_f32_e32 v2, v2, v4
	v_add_f32_e32 v65, v24, v17
	v_mov_b32_e32 v4, v96
	v_sub_f32_e32 v25, v48, v44
	v_fmac_f32_e32 v4, 0xbe8c1d8e, v65
	v_mul_f32_e32 v97, 0x3f2c7751, v25
	v_add_f32_e32 v2, v2, v4
	v_add_f32_e32 v66, v13, v12
	v_mov_b32_e32 v4, v97
	v_sub_f32_e32 v26, v49, v45
	;; [unrolled: 6-line block ×3, first 2 shown]
	v_fmac_f32_e32 v4, 0x3f6eb680, v67
	v_mul_f32_e32 v99, 0xbf7ee86f, v27
	v_sub_f32_e32 v69, v1, v38
	v_add_f32_e32 v2, v2, v4
	v_add_f32_e32 v68, v15, v9
	v_mov_b32_e32 v4, v99
	v_add_f32_e32 v28, v42, v33
	v_mul_f32_e32 v100, 0xbf65296c, v69
	v_sub_f32_e32 v70, v31, v19
	v_fmac_f32_e32 v4, 0x3dbcf732, v68
	v_fma_f32 v1, v28, s5, -v100
	v_add_f32_e32 v30, v43, v36
	v_mul_f32_e32 v101, 0xbf4c4adb, v70
	v_sub_f32_e32 v71, v29, v18
	v_add_f32_e32 v2, v2, v4
	v_add_f32_e32 v1, v0, v1
	v_fma_f32 v4, v30, s1, -v101
	v_add_f32_e32 v40, v46, v39
	v_mul_f32_e32 v102, 0x3e3c28d5, v71
	v_sub_f32_e32 v72, v24, v17
	v_add_f32_e32 v1, v1, v4
	v_fma_f32 v4, v40, s0, -v102
	v_add_f32_e32 v54, v47, v41
	v_mul_f32_e32 v103, 0x3f763a35, v72
	v_sub_f32_e32 v73, v13, v12
	;; [unrolled: 5-line block ×5, first 2 shown]
	v_add_f32_e32 v1, v1, v4
	v_fma_f32 v4, v58, s6, -v106
	v_mul_f32_e32 v107, 0xbf06c442, v60
	v_add_f32_e32 v1, v1, v4
	v_add_f32_e32 v76, v16, v10
	v_mov_b32_e32 v4, v107
	v_sub_f32_e32 v77, v16, v10
	v_fmac_f32_e32 v4, 0xbf59a7d5, v76
	v_add_f32_e32 v59, v52, v53
	v_mul_f32_e32 v108, 0xbf06c442, v77
	v_add_f32_e32 v2, v2, v4
	v_fma_f32 v4, v59, s7, -v108
	v_mul_f32_e32 v92, 0xbe3c28d5, v21
	v_add_f32_e32 v1, v1, v4
	v_mov_b32_e32 v4, v92
	v_fmac_f32_e32 v4, 0xbf7ba420, v63
	v_mul_f32_e32 v109, 0x3f763a35, v22
	v_add_f32_e32 v3, v3, v4
	v_mov_b32_e32 v4, v109
	v_fmac_f32_e32 v4, 0xbe8c1d8e, v64
	;; [unrolled: 4-line block ×6, first 2 shown]
	v_mul_f32_e32 v114, 0xbf7ee86f, v69
	v_add_f32_e32 v3, v3, v4
	v_fma_f32 v4, v28, s6, -v114
	v_mul_f32_e32 v115, 0xbe3c28d5, v70
	v_add_f32_e32 v4, v0, v4
	v_fma_f32 v6, v30, s0, -v115
	v_mul_f32_e32 v116, 0x3f763a35, v71
	v_add_f32_e32 v4, v4, v6
	v_fma_f32 v6, v40, s4, -v116
	v_mul_f32_e32 v117, 0x3eb8f4ab, v72
	v_add_f32_e32 v4, v4, v6
	v_fma_f32 v6, v54, s9, -v117
	v_mul_f32_e32 v118, 0xbf65296c, v73
	v_add_f32_e32 v4, v4, v6
	v_fma_f32 v6, v56, s5, -v118
	v_mul_f32_e32 v119, 0xbf06c442, v74
	v_add_f32_e32 v4, v4, v6
	v_fma_f32 v6, v57, s7, -v119
	v_mul_f32_e32 v120, 0x3f4c4adb, v75
	v_add_f32_e32 v4, v4, v6
	v_fma_f32 v6, v58, s1, -v120
	v_mul_f32_e32 v121, 0x3f2c7751, v60
	v_add_f32_e32 v6, v4, v6
	v_mov_b32_e32 v4, v121
	v_fmac_f32_e32 v4, 0x3f3d2fb0, v76
	v_mul_f32_e32 v122, 0x3f2c7751, v77
	v_add_f32_e32 v4, v3, v4
	v_fma_f32 v3, v59, s8, -v122
	v_mul_f32_e32 v90, 0x3f06c442, v21
	v_add_f32_e32 v3, v6, v3
	v_mov_b32_e32 v6, v90
	v_fmac_f32_e32 v6, 0xbf59a7d5, v63
	v_mul_f32_e32 v123, 0x3f2c7751, v22
	v_add_f32_e32 v5, v5, v6
	v_mov_b32_e32 v6, v123
	v_fmac_f32_e32 v6, 0x3f3d2fb0, v64
	;; [unrolled: 4-line block ×6, first 2 shown]
	v_mul_f32_e32 v128, 0xbf763a35, v69
	v_add_f32_e32 v5, v5, v6
	v_fma_f32 v6, v28, s4, -v128
	v_mul_f32_e32 v129, 0x3f06c442, v70
	v_add_f32_e32 v6, v0, v6
	v_fma_f32 v7, v30, s7, -v129
	;; [unrolled: 3-line block ×7, first 2 shown]
	v_mul_f32_e32 v135, 0xbf4c4adb, v60
	v_add_f32_e32 v7, v6, v7
	v_mov_b32_e32 v6, v135
	v_fmac_f32_e32 v6, 0xbf1a4643, v76
	v_mul_f32_e32 v136, 0xbf4c4adb, v77
	v_add_f32_e32 v6, v5, v6
	v_fma_f32 v5, v59, s1, -v136
	v_mul_f32_e32 v88, 0x3f763a35, v21
	v_add_f32_e32 v5, v7, v5
	v_mov_b32_e32 v7, v88
	v_fmac_f32_e32 v7, 0xbe8c1d8e, v63
	v_mul_f32_e32 v137, 0xbeb8f4ab, v22
	v_add_f32_e32 v7, v8, v7
	v_mov_b32_e32 v8, v137
	v_fma_f32 v94, v63, s1, -v94
	v_fmac_f32_e32 v8, 0x3f6eb680, v64
	v_mul_f32_e32 v138, 0xbf06c442, v23
	v_add_f32_e32 v93, v93, v94
	v_fma_f32 v94, v64, s0, -v95
	v_add_f32_e32 v7, v7, v8
	v_mov_b32_e32 v8, v138
	v_add_f32_e32 v93, v93, v94
	v_fma_f32 v94, v65, s4, -v96
	v_fmac_f32_e32 v8, 0xbf59a7d5, v65
	v_mul_f32_e32 v139, 0x3f7ee86f, v25
	v_add_f32_e32 v93, v93, v94
	v_fma_f32 v94, v66, s8, -v97
	v_add_f32_e32 v7, v7, v8
	v_mov_b32_e32 v8, v139
	v_add_f32_e32 v93, v93, v94
	v_fma_f32 v94, v67, s9, -v98
	v_fmac_f32_e32 v8, 0x3dbcf732, v66
	v_mul_f32_e32 v140, 0xbf2c7751, v26
	v_add_f32_e32 v93, v93, v94
	v_fma_f32 v94, v68, s6, -v99
	v_fmac_f32_e32 v100, 0x3ee437d1, v28
	v_add_f32_e32 v7, v7, v8
	v_mov_b32_e32 v8, v140
	v_add_f32_e32 v93, v93, v94
	v_add_f32_e32 v94, v0, v100
	v_fmac_f32_e32 v101, 0xbf1a4643, v30
	v_fmac_f32_e32 v8, 0x3f3d2fb0, v67
	v_mul_f32_e32 v141, 0xbe3c28d5, v27
	v_add_f32_e32 v94, v94, v101
	v_fmac_f32_e32 v102, 0xbf7ba420, v40
	v_add_f32_e32 v7, v7, v8
	v_mov_b32_e32 v8, v141
	v_add_f32_e32 v94, v94, v102
	v_fmac_f32_e32 v103, 0xbe8c1d8e, v54
	v_fmac_f32_e32 v8, 0xbf7ba420, v68
	v_mul_f32_e32 v142, 0xbf4c4adb, v69
	v_add_f32_e32 v94, v94, v103
	v_fmac_f32_e32 v104, 0x3f3d2fb0, v56
	v_add_f32_e32 v7, v7, v8
	v_fma_f32 v8, v28, s1, -v142
	v_mul_f32_e32 v143, 0x3f763a35, v70
	v_add_f32_e32 v94, v94, v104
	v_fmac_f32_e32 v105, 0x3f6eb680, v57
	v_add_f32_e32 v8, v0, v8
	v_fma_f32 v80, v30, s4, -v143
	v_mul_f32_e32 v144, 0xbeb8f4ab, v71
	v_add_f32_e32 v94, v94, v105
	v_fmac_f32_e32 v106, 0x3dbcf732, v58
	v_add_f32_e32 v8, v8, v80
	v_fma_f32 v80, v40, s9, -v144
	v_mul_f32_e32 v145, 0xbf06c442, v72
	v_add_f32_e32 v95, v94, v106
	v_fma_f32 v94, v76, s7, -v107
	v_fmac_f32_e32 v108, 0xbf59a7d5, v59
	v_mul_f32_e32 v97, 0x3dbcf732, v63
	v_add_f32_e32 v8, v8, v80
	v_fma_f32 v80, v54, s7, -v145
	v_mul_f32_e32 v146, 0x3f7ee86f, v73
	v_add_f32_e32 v94, v93, v94
	v_add_f32_e32 v93, v95, v108
	v_mov_b32_e32 v95, v97
	v_add_f32_e32 v8, v8, v80
	v_fma_f32 v80, v56, s6, -v146
	v_mul_f32_e32 v147, 0xbf2c7751, v74
	v_fmac_f32_e32 v95, 0x3f7ee86f, v21
	v_mul_f32_e32 v98, 0xbf1a4643, v64
	v_add_f32_e32 v8, v8, v80
	v_fma_f32 v80, v57, s8, -v147
	v_mul_f32_e32 v148, 0xbe3c28d5, v75
	v_add_f32_e32 v78, v78, v95
	v_mov_b32_e32 v95, v98
	v_add_f32_e32 v8, v8, v80
	v_fma_f32 v80, v58, s0, -v148
	v_mul_f32_e32 v149, 0x3f65296c, v60
	v_fmac_f32_e32 v95, 0x3f4c4adb, v22
	v_mul_f32_e32 v99, 0xbf7ba420, v65
	v_add_f32_e32 v80, v8, v80
	v_mov_b32_e32 v8, v149
	v_add_f32_e32 v78, v78, v95
	v_mov_b32_e32 v95, v99
	v_fmac_f32_e32 v8, 0x3ee437d1, v76
	v_mul_f32_e32 v150, 0x3f65296c, v77
	v_fmac_f32_e32 v95, 0x3e3c28d5, v23
	v_mul_f32_e32 v100, 0xbf59a7d5, v66
	v_add_f32_e32 v8, v7, v8
	v_fma_f32 v7, v59, s5, -v150
	v_mul_f32_e32 v86, 0x3f65296c, v21
	v_add_f32_e32 v78, v78, v95
	v_mov_b32_e32 v95, v100
	v_add_f32_e32 v7, v80, v7
	v_mov_b32_e32 v80, v86
	v_fmac_f32_e32 v95, 0xbf06c442, v25
	v_mul_f32_e32 v101, 0xbe8c1d8e, v67
	v_fmac_f32_e32 v80, 0x3ee437d1, v63
	v_mul_f32_e32 v151, 0xbf7ee86f, v22
	v_add_f32_e32 v78, v78, v95
	v_mov_b32_e32 v95, v101
	v_add_f32_e32 v79, v79, v80
	v_mov_b32_e32 v80, v151
	v_fma_f32 v92, v63, s0, -v92
	v_fmac_f32_e32 v95, 0xbf763a35, v26
	v_mul_f32_e32 v102, 0x3ee437d1, v68
	v_fmac_f32_e32 v80, 0x3dbcf732, v64
	v_mul_f32_e32 v152, 0x3f4c4adb, v23
	v_add_f32_e32 v91, v91, v92
	v_fma_f32 v92, v64, s4, -v109
	v_add_f32_e32 v78, v78, v95
	v_mov_b32_e32 v95, v102
	v_add_f32_e32 v79, v79, v80
	v_mov_b32_e32 v80, v152
	v_add_f32_e32 v91, v91, v92
	v_fma_f32 v92, v65, s9, -v110
	v_fmac_f32_e32 v95, 0xbf65296c, v27
	v_mul_f32_e32 v103, 0xbf2c7751, v69
	v_fmac_f32_e32 v80, 0xbf1a4643, v65
	v_mul_f32_e32 v153, 0xbeb8f4ab, v25
	v_add_f32_e32 v91, v91, v92
	v_fma_f32 v92, v66, s5, -v111
	v_add_f32_e32 v78, v78, v95
	v_mov_b32_e32 v95, v103
	v_mul_f32_e32 v104, 0xbf7ee86f, v70
	v_add_f32_e32 v79, v79, v80
	v_mov_b32_e32 v80, v153
	v_add_f32_e32 v91, v91, v92
	v_fma_f32 v92, v67, s7, -v112
	v_fmac_f32_e32 v95, 0x3f3d2fb0, v28
	v_mov_b32_e32 v96, v104
	v_fmac_f32_e32 v80, 0x3f6eb680, v66
	v_mul_f32_e32 v154, 0xbe3c28d5, v26
	v_add_f32_e32 v91, v91, v92
	v_fma_f32 v92, v68, s1, -v113
	v_fmac_f32_e32 v114, 0x3dbcf732, v28
	v_add_f32_e32 v95, v0, v95
	v_fmac_f32_e32 v96, 0x3dbcf732, v30
	v_mul_f32_e32 v105, 0xbf4c4adb, v71
	v_add_f32_e32 v79, v79, v80
	v_mov_b32_e32 v80, v154
	v_add_f32_e32 v91, v91, v92
	v_add_f32_e32 v92, v0, v114
	v_fmac_f32_e32 v115, 0xbf7ba420, v30
	v_add_f32_e32 v95, v95, v96
	v_mov_b32_e32 v96, v105
	v_fmac_f32_e32 v80, 0xbf7ba420, v67
	v_mul_f32_e32 v155, 0x3f2c7751, v27
	v_add_f32_e32 v92, v92, v115
	v_fmac_f32_e32 v116, 0xbe8c1d8e, v40
	v_fmac_f32_e32 v96, 0xbf1a4643, v40
	v_mul_f32_e32 v106, 0xbe3c28d5, v72
	v_add_f32_e32 v79, v79, v80
	v_mov_b32_e32 v80, v155
	v_add_f32_e32 v92, v92, v116
	v_fmac_f32_e32 v117, 0x3f6eb680, v54
	v_add_f32_e32 v95, v95, v96
	v_mov_b32_e32 v96, v106
	v_fmac_f32_e32 v80, 0x3f3d2fb0, v68
	v_mul_f32_e32 v156, 0xbf06c442, v69
	v_add_f32_e32 v92, v92, v117
	v_fmac_f32_e32 v118, 0x3ee437d1, v56
	v_fmac_f32_e32 v96, 0xbf7ba420, v54
	v_mul_f32_e32 v107, 0x3f06c442, v73
	v_add_f32_e32 v79, v79, v80
	v_fma_f32 v80, v28, s7, -v156
	v_mul_f32_e32 v157, 0x3f65296c, v70
	v_add_f32_e32 v92, v92, v118
	v_fmac_f32_e32 v119, 0xbf59a7d5, v57
	v_add_f32_e32 v95, v95, v96
	v_mov_b32_e32 v96, v107
	v_add_f32_e32 v80, v0, v80
	v_fma_f32 v82, v30, s5, -v157
	v_mul_f32_e32 v158, 0xbf7ee86f, v71
	v_add_f32_e32 v92, v92, v119
	v_fmac_f32_e32 v120, 0xbf1a4643, v58
	v_fmac_f32_e32 v96, 0xbf59a7d5, v56
	v_mul_f32_e32 v108, 0x3f763a35, v74
	v_add_f32_e32 v80, v80, v82
	v_fma_f32 v82, v40, s6, -v158
	v_mul_f32_e32 v159, 0x3f4c4adb, v72
	v_add_f32_e32 v109, v92, v120
	v_fma_f32 v92, v76, s8, -v121
	v_fmac_f32_e32 v122, 0x3f3d2fb0, v59
	v_add_f32_e32 v95, v95, v96
	v_mov_b32_e32 v96, v108
	v_add_f32_e32 v31, v61, v31
	v_add_f32_e32 v80, v80, v82
	v_fma_f32 v82, v54, s1, -v159
	v_mul_f32_e32 v160, 0xbeb8f4ab, v73
	v_add_f32_e32 v92, v91, v92
	v_add_f32_e32 v91, v109, v122
	v_fmac_f32_e32 v96, 0xbe8c1d8e, v57
	v_mul_f32_e32 v109, 0x3f65296c, v75
	v_add_f32_e32 v29, v31, v29
	v_add_f32_e32 v80, v80, v82
	v_fma_f32 v82, v56, s9, -v160
	v_mul_f32_e32 v161, 0xbe3c28d5, v74
	v_add_f32_e32 v95, v95, v96
	v_mov_b32_e32 v96, v109
	v_add_f32_e32 v24, v29, v24
	v_add_f32_e32 v80, v80, v82
	v_fma_f32 v82, v57, s0, -v161
	v_mul_f32_e32 v162, 0x3f2c7751, v75
	v_fmac_f32_e32 v96, 0x3ee437d1, v58
	v_mul_f32_e32 v110, 0x3f6eb680, v76
	v_add_f32_e32 v13, v24, v13
	v_add_f32_e32 v80, v80, v82
	v_fma_f32 v82, v58, s8, -v162
	v_mul_f32_e32 v163, 0xbf763a35, v60
	v_add_f32_e32 v95, v95, v96
	v_mov_b32_e32 v96, v110
	v_add_f32_e32 v13, v13, v14
	v_add_f32_e32 v82, v80, v82
	v_mov_b32_e32 v80, v163
	v_fmac_f32_e32 v96, 0xbeb8f4ab, v60
	v_add_f32_e32 v13, v13, v15
	v_fmac_f32_e32 v80, 0xbe8c1d8e, v76
	v_mul_f32_e32 v164, 0xbf763a35, v77
	v_add_f32_e32 v96, v78, v96
	v_mul_f32_e32 v78, 0x3eb8f4ab, v77
	v_add_f32_e32 v13, v13, v16
	v_add_f32_e32 v80, v79, v80
	v_fma_f32 v79, v59, s4, -v164
	v_mul_f32_e32 v84, 0x3eb8f4ab, v21
	v_mov_b32_e32 v111, v78
	v_add_f32_e32 v10, v13, v10
	v_add_f32_e32 v79, v82, v79
	v_mov_b32_e32 v82, v84
	v_fmac_f32_e32 v111, 0x3f6eb680, v59
	v_add_f32_e32 v9, v9, v10
	v_add_f32_e32 v10, v0, v42
	v_fmac_f32_e32 v82, 0x3f6eb680, v63
	v_mul_f32_e32 v165, 0xbf06c442, v22
	v_add_f32_e32 v95, v95, v111
	v_mul_f32_e32 v111, 0x3f3d2fb0, v63
	v_add_f32_e32 v10, v10, v43
	v_add_f32_e32 v81, v81, v82
	v_mov_b32_e32 v82, v165
	v_fma_f32 v84, v63, s9, -v84
	v_fma_f32 v86, v63, s5, -v86
	;; [unrolled: 1-line block ×4, first 2 shown]
	v_mov_b32_e32 v63, v111
	v_add_f32_e32 v10, v10, v46
	v_fmac_f32_e32 v82, 0xbf59a7d5, v64
	v_mul_f32_e32 v166, 0x3f2c7751, v23
	v_add_f32_e32 v83, v83, v84
	v_fma_f32 v84, v64, s7, -v165
	v_add_f32_e32 v85, v85, v86
	v_fma_f32 v86, v64, s6, -v151
	v_add_f32_e32 v87, v87, v88
	v_fma_f32 v88, v64, s9, -v137
	v_add_f32_e32 v89, v89, v90
	v_fma_f32 v90, v64, s8, -v123
	v_fmac_f32_e32 v63, 0x3f2c7751, v21
	v_mul_f32_e32 v64, 0x3ee437d1, v64
	v_add_f32_e32 v10, v10, v47
	v_add_f32_e32 v81, v81, v82
	v_mov_b32_e32 v82, v166
	v_add_f32_e32 v62, v62, v63
	v_mov_b32_e32 v63, v64
	v_add_f32_e32 v10, v10, v48
	v_fmac_f32_e32 v82, 0x3f3d2fb0, v65
	v_mul_f32_e32 v167, 0xbf4c4adb, v25
	v_add_f32_e32 v83, v83, v84
	v_fma_f32 v84, v65, s8, -v166
	v_add_f32_e32 v85, v85, v86
	v_fma_f32 v86, v65, s1, -v152
	v_add_f32_e32 v87, v87, v88
	v_fma_f32 v88, v65, s7, -v138
	v_add_f32_e32 v89, v89, v90
	v_fma_f32 v90, v65, s5, -v124
	v_fmac_f32_e32 v63, 0x3f65296c, v22
	v_mul_f32_e32 v65, 0x3dbcf732, v65
	v_add_f32_e32 v10, v10, v49
	v_add_f32_e32 v81, v81, v82
	v_mov_b32_e32 v82, v167
	v_add_f32_e32 v62, v62, v63
	;; [unrolled: 18-line block ×4, first 2 shown]
	v_mov_b32_e32 v63, v67
	v_add_f32_e32 v9, v11, v9
	v_add_f32_e32 v10, v45, v10
	v_fmac_f32_e32 v82, 0xbe8c1d8e, v68
	v_add_f32_e32 v83, v83, v84
	v_fma_f32 v84, v68, s4, -v169
	v_add_f32_e32 v85, v85, v86
	v_fma_f32 v86, v68, s8, -v155
	;; [unrolled: 2-line block ×4, first 2 shown]
	v_fmac_f32_e32 v63, 0x3f4c4adb, v26
	v_mul_f32_e32 v68, 0xbf59a7d5, v68
	v_add_f32_e32 v9, v12, v9
	v_add_f32_e32 v10, v44, v10
	v_mul_f32_e32 v170, 0xbe3c28d5, v69
	v_add_f32_e32 v62, v62, v63
	v_mov_b32_e32 v63, v68
	v_add_f32_e32 v9, v17, v9
	v_add_f32_e32 v10, v41, v10
	;; [unrolled: 1-line block ×3, first 2 shown]
	v_fma_f32 v82, v28, s0, -v170
	v_mul_f32_e32 v171, 0x3eb8f4ab, v70
	v_fmac_f32_e32 v63, 0x3f06c442, v27
	v_mul_f32_e32 v69, 0xbeb8f4ab, v69
	v_add_f32_e32 v9, v18, v9
	v_add_f32_e32 v10, v39, v10
	;; [unrolled: 1-line block ×3, first 2 shown]
	v_fma_f32 v172, v30, s9, -v171
	v_add_f32_e32 v62, v62, v63
	v_mov_b32_e32 v63, v69
	v_mul_f32_e32 v70, 0xbf2c7751, v70
	v_add_f32_e32 v9, v19, v9
	v_add_f32_e32 v11, v36, v10
	v_fmac_f32_e32 v97, 0xbf7ee86f, v21
	v_fma_f32 v12, v28, s8, -v103
	v_add_f32_e32 v82, v82, v172
	v_mul_f32_e32 v172, 0xbf06c442, v71
	v_fmac_f32_e32 v63, 0x3f6eb680, v28
	v_mov_b32_e32 v112, v70
	v_add_f32_e32 v10, v38, v9
	v_add_f32_e32 v9, v33, v11
	;; [unrolled: 1-line block ×3, first 2 shown]
	v_fmac_f32_e32 v98, 0xbf4c4adb, v22
	v_add_f32_e32 v12, v0, v12
	v_fma_f32 v13, v30, s6, -v104
	v_fma_f32 v173, v40, s7, -v172
	v_add_f32_e32 v63, v0, v63
	v_fmac_f32_e32 v112, 0x3f3d2fb0, v30
	v_mul_f32_e32 v71, 0xbf65296c, v71
	v_add_f32_e32 v11, v11, v98
	v_fmac_f32_e32 v99, 0xbe3c28d5, v23
	v_add_f32_e32 v12, v12, v13
	v_fma_f32 v13, v40, s1, -v105
	v_add_f32_e32 v82, v82, v173
	v_mul_f32_e32 v173, 0x3f2c7751, v72
	v_add_f32_e32 v63, v63, v112
	v_mov_b32_e32 v112, v71
	v_add_f32_e32 v11, v11, v99
	v_fmac_f32_e32 v100, 0x3f06c442, v25
	v_add_f32_e32 v12, v12, v13
	v_fma_f32 v13, v54, s0, -v106
	v_fma_f32 v174, v54, s8, -v173
	v_fmac_f32_e32 v112, 0x3ee437d1, v40
	v_mul_f32_e32 v72, 0xbf7ee86f, v72
	v_add_f32_e32 v11, v11, v100
	v_fmac_f32_e32 v101, 0x3f763a35, v26
	v_add_f32_e32 v12, v12, v13
	v_fma_f32 v13, v56, s7, -v107
	v_add_f32_e32 v82, v82, v174
	v_mul_f32_e32 v174, 0xbf4c4adb, v73
	v_fmac_f32_e32 v170, 0xbf7ba420, v28
	v_fmac_f32_e32 v156, 0xbf59a7d5, v28
	;; [unrolled: 1-line block ×4, first 2 shown]
	v_add_f32_e32 v63, v63, v112
	v_mov_b32_e32 v112, v72
	v_add_f32_e32 v11, v11, v101
	v_fmac_f32_e32 v102, 0x3f65296c, v27
	v_add_f32_e32 v12, v12, v13
	v_fma_f32 v13, v57, s4, -v108
	v_fma_f32 v175, v56, s1, -v174
	v_add_f32_e32 v83, v83, v84
	v_add_f32_e32 v84, v0, v170
	v_fmac_f32_e32 v171, 0x3f6eb680, v30
	v_add_f32_e32 v85, v85, v86
	v_add_f32_e32 v86, v0, v156
	v_fmac_f32_e32 v157, 0x3ee437d1, v30
	;; [unrolled: 3-line block ×4, first 2 shown]
	v_fmac_f32_e32 v112, 0x3dbcf732, v54
	v_mul_f32_e32 v73, 0xbf763a35, v73
	v_add_f32_e32 v11, v11, v102
	v_add_f32_e32 v12, v12, v13
	v_fma_f32 v13, v58, s5, -v109
	v_fmac_f32_e32 v110, 0x3eb8f4ab, v60
	v_add_f32_e32 v82, v82, v175
	v_mul_f32_e32 v175, 0x3f65296c, v74
	v_add_f32_e32 v84, v84, v171
	v_fmac_f32_e32 v172, 0xbf59a7d5, v40
	v_add_f32_e32 v86, v86, v157
	v_fmac_f32_e32 v158, 0x3dbcf732, v40
	;; [unrolled: 2-line block ×4, first 2 shown]
	v_add_f32_e32 v63, v63, v112
	v_mov_b32_e32 v112, v73
	v_add_f32_e32 v13, v12, v13
	v_add_f32_e32 v12, v11, v110
	v_fma_f32 v11, v59, s9, -v78
	v_fmac_f32_e32 v111, 0xbf2c7751, v21
	v_fma_f32 v176, v57, s5, -v175
	v_add_f32_e32 v84, v84, v172
	v_fmac_f32_e32 v173, 0x3f3d2fb0, v54
	v_add_f32_e32 v86, v86, v158
	v_fmac_f32_e32 v159, 0xbf1a4643, v54
	;; [unrolled: 2-line block ×4, first 2 shown]
	v_fmac_f32_e32 v112, 0xbe8c1d8e, v56
	v_mul_f32_e32 v74, 0xbf4c4adb, v74
	v_add_f32_e32 v11, v13, v11
	v_add_f32_e32 v13, v20, v111
	v_fmac_f32_e32 v64, 0xbf65296c, v22
	v_add_f32_e32 v82, v82, v176
	v_mul_f32_e32 v176, 0xbf763a35, v75
	v_add_f32_e32 v84, v84, v173
	v_fmac_f32_e32 v174, 0xbf1a4643, v56
	v_add_f32_e32 v86, v86, v159
	v_fmac_f32_e32 v160, 0x3f6eb680, v56
	;; [unrolled: 2-line block ×4, first 2 shown]
	v_add_f32_e32 v63, v63, v112
	v_mov_b32_e32 v112, v74
	v_add_f32_e32 v13, v13, v64
	v_fmac_f32_e32 v65, 0xbf7ee86f, v23
	v_fma_f32 v177, v58, s4, -v176
	v_mul_f32_e32 v178, 0x3f7ee86f, v60
	v_add_f32_e32 v84, v84, v174
	v_fmac_f32_e32 v175, 0x3ee437d1, v57
	v_add_f32_e32 v86, v86, v160
	v_fmac_f32_e32 v161, 0xbf7ba420, v57
	;; [unrolled: 2-line block ×4, first 2 shown]
	v_fmac_f32_e32 v112, 0xbf1a4643, v57
	v_mul_f32_e32 v75, 0xbf06c442, v75
	v_add_f32_e32 v13, v13, v65
	v_fmac_f32_e32 v66, 0xbf763a35, v25
	v_add_f32_e32 v177, v82, v177
	v_mov_b32_e32 v82, v178
	v_add_f32_e32 v84, v84, v175
	v_fmac_f32_e32 v176, 0xbe8c1d8e, v58
	v_add_f32_e32 v86, v86, v161
	v_fmac_f32_e32 v162, 0x3f3d2fb0, v58
	;; [unrolled: 2-line block ×4, first 2 shown]
	v_add_f32_e32 v63, v63, v112
	v_mov_b32_e32 v112, v75
	v_add_f32_e32 v13, v13, v66
	v_fmac_f32_e32 v67, 0xbf4c4adb, v26
	v_fmac_f32_e32 v82, 0x3dbcf732, v76
	v_add_f32_e32 v165, v84, v176
	v_fma_f32 v84, v76, s6, -v178
	v_add_f32_e32 v151, v86, v162
	v_fma_f32 v86, v76, s4, -v163
	;; [unrolled: 2-line block ×4, first 2 shown]
	v_fmac_f32_e32 v112, 0xbf59a7d5, v58
	v_mul_f32_e32 v76, 0xbf7ba420, v76
	v_add_f32_e32 v13, v13, v67
	v_fmac_f32_e32 v68, 0xbf06c442, v27
	v_add_f32_e32 v112, v63, v112
	v_mov_b32_e32 v63, v76
	v_add_f32_e32 v13, v13, v68
	v_fmac_f32_e32 v76, 0xbe3c28d5, v60
	v_add_f32_e32 v14, v13, v76
	v_fma_f32 v13, v28, s9, -v69
	v_add_f32_e32 v0, v0, v13
	v_fma_f32 v13, v30, s8, -v70
	;; [unrolled: 2-line block ×6, first 2 shown]
	v_mul_f32_e32 v179, 0x3f7ee86f, v77
	v_mul_f32_e32 v77, 0xbe3c28d5, v77
	v_add_f32_e32 v0, v0, v13
	v_fma_f32 v13, v58, s7, -v75
	v_add_f32_e32 v0, v0, v13
	v_fma_f32 v13, v59, s0, -v77
	v_mov_b32_e32 v33, v37
	v_add_f32_e32 v13, v0, v13
	v_mov_b32_e32 v0, s3
	v_add_co_u32_e32 v17, vcc, s2, v34
	v_lshlrev_b64 v[15:16], 3, v[32:33]
	v_fmac_f32_e32 v63, 0x3e3c28d5, v60
	v_addc_co_u32_e32 v0, vcc, v0, v35, vcc
	v_add_f32_e32 v63, v62, v63
	v_mov_b32_e32 v62, v77
	v_add_co_u32_e32 v15, vcc, v17, v15
	v_add_f32_e32 v82, v81, v82
	v_fma_f32 v81, v59, s6, -v179
	v_fmac_f32_e32 v179, 0x3dbcf732, v59
	v_fmac_f32_e32 v164, 0xbe8c1d8e, v59
	;; [unrolled: 1-line block ×5, first 2 shown]
	v_addc_co_u32_e32 v16, vcc, v0, v16, vcc
	v_add_f32_e32 v81, v177, v81
	v_add_f32_e32 v84, v83, v84
	;; [unrolled: 1-line block ×10, first 2 shown]
	global_store_dwordx2 v[15:16], v[9:10], off
	global_store_dwordx2 v[15:16], v[62:63], off offset:128
	global_store_dwordx2 v[15:16], v[95:96], off offset:256
	;; [unrolled: 1-line block ×16, first 2 shown]
	s_endpgm
	.section	.rodata,"a",@progbits
	.p2align	6, 0x0
	.amdhsa_kernel fft_rtc_back_len272_factors_16_17_wgs_119_tpt_17_halfLds_sp_ip_CI_unitstride_sbrr_dirReg
		.amdhsa_group_segment_fixed_size 0
		.amdhsa_private_segment_fixed_size 0
		.amdhsa_kernarg_size 88
		.amdhsa_user_sgpr_count 6
		.amdhsa_user_sgpr_private_segment_buffer 1
		.amdhsa_user_sgpr_dispatch_ptr 0
		.amdhsa_user_sgpr_queue_ptr 0
		.amdhsa_user_sgpr_kernarg_segment_ptr 1
		.amdhsa_user_sgpr_dispatch_id 0
		.amdhsa_user_sgpr_flat_scratch_init 0
		.amdhsa_user_sgpr_private_segment_size 0
		.amdhsa_uses_dynamic_stack 0
		.amdhsa_system_sgpr_private_segment_wavefront_offset 0
		.amdhsa_system_sgpr_workgroup_id_x 1
		.amdhsa_system_sgpr_workgroup_id_y 0
		.amdhsa_system_sgpr_workgroup_id_z 0
		.amdhsa_system_sgpr_workgroup_info 0
		.amdhsa_system_vgpr_workitem_id 0
		.amdhsa_next_free_vgpr 180
		.amdhsa_next_free_sgpr 22
		.amdhsa_reserve_vcc 1
		.amdhsa_reserve_flat_scratch 0
		.amdhsa_float_round_mode_32 0
		.amdhsa_float_round_mode_16_64 0
		.amdhsa_float_denorm_mode_32 3
		.amdhsa_float_denorm_mode_16_64 3
		.amdhsa_dx10_clamp 1
		.amdhsa_ieee_mode 1
		.amdhsa_fp16_overflow 0
		.amdhsa_exception_fp_ieee_invalid_op 0
		.amdhsa_exception_fp_denorm_src 0
		.amdhsa_exception_fp_ieee_div_zero 0
		.amdhsa_exception_fp_ieee_overflow 0
		.amdhsa_exception_fp_ieee_underflow 0
		.amdhsa_exception_fp_ieee_inexact 0
		.amdhsa_exception_int_div_zero 0
	.end_amdhsa_kernel
	.text
.Lfunc_end0:
	.size	fft_rtc_back_len272_factors_16_17_wgs_119_tpt_17_halfLds_sp_ip_CI_unitstride_sbrr_dirReg, .Lfunc_end0-fft_rtc_back_len272_factors_16_17_wgs_119_tpt_17_halfLds_sp_ip_CI_unitstride_sbrr_dirReg
                                        ; -- End function
	.section	.AMDGPU.csdata,"",@progbits
; Kernel info:
; codeLenInByte = 8352
; NumSgprs: 26
; NumVgprs: 180
; ScratchSize: 0
; MemoryBound: 0
; FloatMode: 240
; IeeeMode: 1
; LDSByteSize: 0 bytes/workgroup (compile time only)
; SGPRBlocks: 3
; VGPRBlocks: 44
; NumSGPRsForWavesPerEU: 26
; NumVGPRsForWavesPerEU: 180
; Occupancy: 1
; WaveLimiterHint : 1
; COMPUTE_PGM_RSRC2:SCRATCH_EN: 0
; COMPUTE_PGM_RSRC2:USER_SGPR: 6
; COMPUTE_PGM_RSRC2:TRAP_HANDLER: 0
; COMPUTE_PGM_RSRC2:TGID_X_EN: 1
; COMPUTE_PGM_RSRC2:TGID_Y_EN: 0
; COMPUTE_PGM_RSRC2:TGID_Z_EN: 0
; COMPUTE_PGM_RSRC2:TIDIG_COMP_CNT: 0
	.type	__hip_cuid_382b9f54588fc080,@object ; @__hip_cuid_382b9f54588fc080
	.section	.bss,"aw",@nobits
	.globl	__hip_cuid_382b9f54588fc080
__hip_cuid_382b9f54588fc080:
	.byte	0                               ; 0x0
	.size	__hip_cuid_382b9f54588fc080, 1

	.ident	"AMD clang version 19.0.0git (https://github.com/RadeonOpenCompute/llvm-project roc-6.4.0 25133 c7fe45cf4b819c5991fe208aaa96edf142730f1d)"
	.section	".note.GNU-stack","",@progbits
	.addrsig
	.addrsig_sym __hip_cuid_382b9f54588fc080
	.amdgpu_metadata
---
amdhsa.kernels:
  - .args:
      - .actual_access:  read_only
        .address_space:  global
        .offset:         0
        .size:           8
        .value_kind:     global_buffer
      - .offset:         8
        .size:           8
        .value_kind:     by_value
      - .actual_access:  read_only
        .address_space:  global
        .offset:         16
        .size:           8
        .value_kind:     global_buffer
      - .actual_access:  read_only
        .address_space:  global
        .offset:         24
        .size:           8
        .value_kind:     global_buffer
      - .offset:         32
        .size:           8
        .value_kind:     by_value
      - .actual_access:  read_only
        .address_space:  global
        .offset:         40
        .size:           8
        .value_kind:     global_buffer
      - .actual_access:  read_only
        .address_space:  global
        .offset:         48
        .size:           8
        .value_kind:     global_buffer
      - .offset:         56
        .size:           4
        .value_kind:     by_value
      - .actual_access:  read_only
        .address_space:  global
        .offset:         64
        .size:           8
        .value_kind:     global_buffer
      - .actual_access:  read_only
        .address_space:  global
        .offset:         72
        .size:           8
        .value_kind:     global_buffer
      - .address_space:  global
        .offset:         80
        .size:           8
        .value_kind:     global_buffer
    .group_segment_fixed_size: 0
    .kernarg_segment_align: 8
    .kernarg_segment_size: 88
    .language:       OpenCL C
    .language_version:
      - 2
      - 0
    .max_flat_workgroup_size: 119
    .name:           fft_rtc_back_len272_factors_16_17_wgs_119_tpt_17_halfLds_sp_ip_CI_unitstride_sbrr_dirReg
    .private_segment_fixed_size: 0
    .sgpr_count:     26
    .sgpr_spill_count: 0
    .symbol:         fft_rtc_back_len272_factors_16_17_wgs_119_tpt_17_halfLds_sp_ip_CI_unitstride_sbrr_dirReg.kd
    .uniform_work_group_size: 1
    .uses_dynamic_stack: false
    .vgpr_count:     180
    .vgpr_spill_count: 0
    .wavefront_size: 64
amdhsa.target:   amdgcn-amd-amdhsa--gfx906
amdhsa.version:
  - 1
  - 2
...

	.end_amdgpu_metadata
